;; amdgpu-corpus repo=ROCm/rocm-libraries kind=compiled arch=gfx1030 opt=O3
	.amdgcn_target "amdgcn-amd-amdhsa--gfx1030"
	.amdhsa_code_object_version 6
	.section	.text._Z18row_scatter_gatherILi8ELi256ELi256ELi8EiDF16_EvPKT3_S2_PKT4_PS3_iii,"axG",@progbits,_Z18row_scatter_gatherILi8ELi256ELi256ELi8EiDF16_EvPKT3_S2_PKT4_PS3_iii,comdat
	.protected	_Z18row_scatter_gatherILi8ELi256ELi256ELi8EiDF16_EvPKT3_S2_PKT4_PS3_iii ; -- Begin function _Z18row_scatter_gatherILi8ELi256ELi256ELi8EiDF16_EvPKT3_S2_PKT4_PS3_iii
	.globl	_Z18row_scatter_gatherILi8ELi256ELi256ELi8EiDF16_EvPKT3_S2_PKT4_PS3_iii
	.p2align	8
	.type	_Z18row_scatter_gatherILi8ELi256ELi256ELi8EiDF16_EvPKT3_S2_PKT4_PS3_iii,@function
_Z18row_scatter_gatherILi8ELi256ELi256ELi8EiDF16_EvPKT3_S2_PKT4_PS3_iii: ; @_Z18row_scatter_gatherILi8ELi256ELi256ELi8EiDF16_EvPKT3_S2_PKT4_PS3_iii
; %bb.0:
	s_load_dword s16, s[4:5], 0x28
	v_readfirstlane_b32 s0, v0
	s_waitcnt lgkmcnt(0)
	s_cmp_lt_i32 s16, 1
	s_cbranch_scc1 .LBB0_3
; %bb.1:
	s_clause 0x1
	s_load_dwordx8 s[8:15], s[4:5], 0x0
	s_load_dword s4, s[4:5], 0x20
	s_lshr_b32 s0, s0, 5
	s_lshl_b32 s1, s6, 3
	v_mov_b32_e32 v0, 0
	s_add_i32 s0, s0, s1
	v_mbcnt_lo_u32_b32 v2, -1, 0
	s_ashr_i32 s1, s0, 31
	s_lshl_b64 s[0:1], s[0:1], 2
	v_lshlrev_b32_e32 v2, 4, v2
	s_waitcnt lgkmcnt(0)
	s_add_u32 s2, s8, s0
	s_addc_u32 s3, s9, s1
	s_add_i32 s4, s4, -1
	s_add_i32 s5, s16, -1
	s_ashr_i32 s6, s4, 31
	s_mul_hi_u32 s7, s4, s16
	s_mul_i32 s6, s6, s16
	s_mul_i32 s4, s4, s16
	s_ashr_i32 s8, s5, 31
	s_add_i32 s7, s7, s6
	s_add_u32 s4, s4, s5
	s_addc_u32 s5, s7, s8
	s_add_u32 s4, s4, 1
	s_addc_u32 s5, s5, 0
	s_mov_b32 s8, 0
	v_cmp_gt_i64_e64 s5, 0x7fffffff, s[4:5]
	s_and_b32 s5, s5, exec_lo
	s_cselect_b32 s4, s4, 0x7fffffff
	s_add_u32 s0, s10, s0
	s_addc_u32 s1, s11, s1
	s_clause 0x1
	global_load_dword v1, v0, s[2:3]
	global_load_dword v0, v0, s[0:1]
	s_lshl_b32 s2, s4, 1
	s_mov_b32 s3, 0x31014000
	s_mov_b32 s0, s12
	;; [unrolled: 1-line block ×7, first 2 shown]
	s_waitcnt vmcnt(1)
	v_mul_lo_u32 v1, v1, s16
	s_waitcnt vmcnt(0)
	v_mul_lo_u32 v3, v0, s16
	v_lshl_add_u32 v0, v1, 1, v2
	v_lshl_add_u32 v1, v3, 1, v2
.LBB0_2:                                ; =>This Inner Loop Header: Depth=1
	buffer_load_dwordx4 v[2:5], v0, s[0:3], 0 offen
	v_add_nc_u32_e32 v0, 0x200, v0
	s_addk_i32 s8, 0x100
	s_cmp_ge_i32 s8, s16
	s_waitcnt vmcnt(0)
	buffer_store_dwordx4 v[2:5], v1, s[4:7], 0 offen
	v_add_nc_u32_e32 v1, 0x200, v1
	s_cbranch_scc0 .LBB0_2
.LBB0_3:
	s_endpgm
	.section	.rodata,"a",@progbits
	.p2align	6, 0x0
	.amdhsa_kernel _Z18row_scatter_gatherILi8ELi256ELi256ELi8EiDF16_EvPKT3_S2_PKT4_PS3_iii
		.amdhsa_group_segment_fixed_size 0
		.amdhsa_private_segment_fixed_size 0
		.amdhsa_kernarg_size 44
		.amdhsa_user_sgpr_count 6
		.amdhsa_user_sgpr_private_segment_buffer 1
		.amdhsa_user_sgpr_dispatch_ptr 0
		.amdhsa_user_sgpr_queue_ptr 0
		.amdhsa_user_sgpr_kernarg_segment_ptr 1
		.amdhsa_user_sgpr_dispatch_id 0
		.amdhsa_user_sgpr_flat_scratch_init 0
		.amdhsa_user_sgpr_private_segment_size 0
		.amdhsa_wavefront_size32 1
		.amdhsa_uses_dynamic_stack 0
		.amdhsa_system_sgpr_private_segment_wavefront_offset 0
		.amdhsa_system_sgpr_workgroup_id_x 1
		.amdhsa_system_sgpr_workgroup_id_y 0
		.amdhsa_system_sgpr_workgroup_id_z 0
		.amdhsa_system_sgpr_workgroup_info 0
		.amdhsa_system_vgpr_workitem_id 0
		.amdhsa_next_free_vgpr 6
		.amdhsa_next_free_sgpr 17
		.amdhsa_reserve_vcc 0
		.amdhsa_reserve_flat_scratch 0
		.amdhsa_float_round_mode_32 0
		.amdhsa_float_round_mode_16_64 0
		.amdhsa_float_denorm_mode_32 3
		.amdhsa_float_denorm_mode_16_64 3
		.amdhsa_dx10_clamp 1
		.amdhsa_ieee_mode 1
		.amdhsa_fp16_overflow 0
		.amdhsa_workgroup_processor_mode 1
		.amdhsa_memory_ordered 1
		.amdhsa_forward_progress 1
		.amdhsa_shared_vgpr_count 0
		.amdhsa_exception_fp_ieee_invalid_op 0
		.amdhsa_exception_fp_denorm_src 0
		.amdhsa_exception_fp_ieee_div_zero 0
		.amdhsa_exception_fp_ieee_overflow 0
		.amdhsa_exception_fp_ieee_underflow 0
		.amdhsa_exception_fp_ieee_inexact 0
		.amdhsa_exception_int_div_zero 0
	.end_amdhsa_kernel
	.section	.text._Z18row_scatter_gatherILi8ELi256ELi256ELi8EiDF16_EvPKT3_S2_PKT4_PS3_iii,"axG",@progbits,_Z18row_scatter_gatherILi8ELi256ELi256ELi8EiDF16_EvPKT3_S2_PKT4_PS3_iii,comdat
.Lfunc_end0:
	.size	_Z18row_scatter_gatherILi8ELi256ELi256ELi8EiDF16_EvPKT3_S2_PKT4_PS3_iii, .Lfunc_end0-_Z18row_scatter_gatherILi8ELi256ELi256ELi8EiDF16_EvPKT3_S2_PKT4_PS3_iii
                                        ; -- End function
	.set _Z18row_scatter_gatherILi8ELi256ELi256ELi8EiDF16_EvPKT3_S2_PKT4_PS3_iii.num_vgpr, 6
	.set _Z18row_scatter_gatherILi8ELi256ELi256ELi8EiDF16_EvPKT3_S2_PKT4_PS3_iii.num_agpr, 0
	.set _Z18row_scatter_gatherILi8ELi256ELi256ELi8EiDF16_EvPKT3_S2_PKT4_PS3_iii.numbered_sgpr, 17
	.set _Z18row_scatter_gatherILi8ELi256ELi256ELi8EiDF16_EvPKT3_S2_PKT4_PS3_iii.num_named_barrier, 0
	.set _Z18row_scatter_gatherILi8ELi256ELi256ELi8EiDF16_EvPKT3_S2_PKT4_PS3_iii.private_seg_size, 0
	.set _Z18row_scatter_gatherILi8ELi256ELi256ELi8EiDF16_EvPKT3_S2_PKT4_PS3_iii.uses_vcc, 0
	.set _Z18row_scatter_gatherILi8ELi256ELi256ELi8EiDF16_EvPKT3_S2_PKT4_PS3_iii.uses_flat_scratch, 0
	.set _Z18row_scatter_gatherILi8ELi256ELi256ELi8EiDF16_EvPKT3_S2_PKT4_PS3_iii.has_dyn_sized_stack, 0
	.set _Z18row_scatter_gatherILi8ELi256ELi256ELi8EiDF16_EvPKT3_S2_PKT4_PS3_iii.has_recursion, 0
	.set _Z18row_scatter_gatherILi8ELi256ELi256ELi8EiDF16_EvPKT3_S2_PKT4_PS3_iii.has_indirect_call, 0
	.section	.AMDGPU.csdata,"",@progbits
; Kernel info:
; codeLenInByte = 324
; TotalNumSgprs: 17
; NumVgprs: 6
; ScratchSize: 0
; MemoryBound: 0
; FloatMode: 240
; IeeeMode: 1
; LDSByteSize: 0 bytes/workgroup (compile time only)
; SGPRBlocks: 0
; VGPRBlocks: 0
; NumSGPRsForWavesPerEU: 17
; NumVGPRsForWavesPerEU: 6
; Occupancy: 16
; WaveLimiterHint : 0
; COMPUTE_PGM_RSRC2:SCRATCH_EN: 0
; COMPUTE_PGM_RSRC2:USER_SGPR: 6
; COMPUTE_PGM_RSRC2:TRAP_HANDLER: 0
; COMPUTE_PGM_RSRC2:TGID_X_EN: 1
; COMPUTE_PGM_RSRC2:TGID_Y_EN: 0
; COMPUTE_PGM_RSRC2:TGID_Z_EN: 0
; COMPUTE_PGM_RSRC2:TIDIG_COMP_CNT: 0
	.section	.AMDGPU.gpr_maximums,"",@progbits
	.set amdgpu.max_num_vgpr, 0
	.set amdgpu.max_num_agpr, 0
	.set amdgpu.max_num_sgpr, 0
	.section	.AMDGPU.csdata,"",@progbits
	.type	__hip_cuid_f708a74d7d4d538f,@object ; @__hip_cuid_f708a74d7d4d538f
	.section	.bss,"aw",@nobits
	.globl	__hip_cuid_f708a74d7d4d538f
__hip_cuid_f708a74d7d4d538f:
	.byte	0                               ; 0x0
	.size	__hip_cuid_f708a74d7d4d538f, 1

	.ident	"AMD clang version 22.0.0git (https://github.com/RadeonOpenCompute/llvm-project roc-7.2.4 26084 f58b06dce1f9c15707c5f808fd002e18c2accf7e)"
	.section	".note.GNU-stack","",@progbits
	.addrsig
	.addrsig_sym __hip_cuid_f708a74d7d4d538f
	.amdgpu_metadata
---
amdhsa.kernels:
  - .args:
      - .address_space:  global
        .offset:         0
        .size:           8
        .value_kind:     global_buffer
      - .address_space:  global
        .offset:         8
        .size:           8
        .value_kind:     global_buffer
      - .address_space:  global
        .offset:         16
        .size:           8
        .value_kind:     global_buffer
      - .address_space:  global
        .offset:         24
        .size:           8
        .value_kind:     global_buffer
      - .offset:         32
        .size:           4
        .value_kind:     by_value
      - .offset:         36
        .size:           4
        .value_kind:     by_value
      - .offset:         40
        .size:           4
        .value_kind:     by_value
    .group_segment_fixed_size: 0
    .kernarg_segment_align: 8
    .kernarg_segment_size: 44
    .language:       OpenCL C
    .language_version:
      - 2
      - 0
    .max_flat_workgroup_size: 1024
    .name:           _Z18row_scatter_gatherILi8ELi256ELi256ELi8EiDF16_EvPKT3_S2_PKT4_PS3_iii
    .private_segment_fixed_size: 0
    .sgpr_count:     17
    .sgpr_spill_count: 0
    .symbol:         _Z18row_scatter_gatherILi8ELi256ELi256ELi8EiDF16_EvPKT3_S2_PKT4_PS3_iii.kd
    .uniform_work_group_size: 1
    .uses_dynamic_stack: false
    .vgpr_count:     6
    .vgpr_spill_count: 0
    .wavefront_size: 32
    .workgroup_processor_mode: 1
amdhsa.target:   amdgcn-amd-amdhsa--gfx1030
amdhsa.version:
  - 1
  - 2
...

	.end_amdgpu_metadata
